;; amdgpu-corpus repo=ROCm/rocFFT kind=compiled arch=gfx1030 opt=O3
	.text
	.amdgcn_target "amdgcn-amd-amdhsa--gfx1030"
	.amdhsa_code_object_version 6
	.protected	fft_rtc_back_len770_factors_11_10_7_wgs_220_tpt_110_half_op_CI_CI_unitstride_sbrr_dirReg ; -- Begin function fft_rtc_back_len770_factors_11_10_7_wgs_220_tpt_110_half_op_CI_CI_unitstride_sbrr_dirReg
	.globl	fft_rtc_back_len770_factors_11_10_7_wgs_220_tpt_110_half_op_CI_CI_unitstride_sbrr_dirReg
	.p2align	8
	.type	fft_rtc_back_len770_factors_11_10_7_wgs_220_tpt_110_half_op_CI_CI_unitstride_sbrr_dirReg,@function
fft_rtc_back_len770_factors_11_10_7_wgs_220_tpt_110_half_op_CI_CI_unitstride_sbrr_dirReg: ; @fft_rtc_back_len770_factors_11_10_7_wgs_220_tpt_110_half_op_CI_CI_unitstride_sbrr_dirReg
; %bb.0:
	s_clause 0x2
	s_load_dwordx4 s[12:15], s[4:5], 0x0
	s_load_dwordx4 s[8:11], s[4:5], 0x58
	;; [unrolled: 1-line block ×3, first 2 shown]
	v_mul_u32_u24_e32 v1, 0x254, v0
	v_mov_b32_e32 v5, 0
	v_mov_b32_e32 v8, 0
	;; [unrolled: 1-line block ×3, first 2 shown]
	v_lshrrev_b32_e32 v12, 16, v1
	v_mov_b32_e32 v11, v5
	v_lshl_add_u32 v10, s6, 1, v12
	s_waitcnt lgkmcnt(0)
	v_cmp_lt_u64_e64 s0, s[14:15], 2
	s_and_b32 vcc_lo, exec_lo, s0
	s_cbranch_vccnz .LBB0_8
; %bb.1:
	s_load_dwordx2 s[0:1], s[4:5], 0x10
	v_mov_b32_e32 v8, 0
	v_mov_b32_e32 v9, 0
	s_add_u32 s2, s18, 8
	s_addc_u32 s3, s19, 0
	v_mov_b32_e32 v1, v8
	s_add_u32 s6, s16, 8
	v_mov_b32_e32 v2, v9
	s_addc_u32 s7, s17, 0
	s_mov_b64 s[22:23], 1
	s_waitcnt lgkmcnt(0)
	s_add_u32 s20, s0, 8
	s_addc_u32 s21, s1, 0
.LBB0_2:                                ; =>This Inner Loop Header: Depth=1
	s_load_dwordx2 s[24:25], s[20:21], 0x0
                                        ; implicit-def: $vgpr3_vgpr4
	s_mov_b32 s0, exec_lo
	s_waitcnt lgkmcnt(0)
	v_or_b32_e32 v6, s25, v11
	v_cmpx_ne_u64_e32 0, v[5:6]
	s_xor_b32 s1, exec_lo, s0
	s_cbranch_execz .LBB0_4
; %bb.3:                                ;   in Loop: Header=BB0_2 Depth=1
	v_cvt_f32_u32_e32 v3, s24
	v_cvt_f32_u32_e32 v4, s25
	s_sub_u32 s0, 0, s24
	s_subb_u32 s26, 0, s25
	v_fmac_f32_e32 v3, 0x4f800000, v4
	v_rcp_f32_e32 v3, v3
	v_mul_f32_e32 v3, 0x5f7ffffc, v3
	v_mul_f32_e32 v4, 0x2f800000, v3
	v_trunc_f32_e32 v4, v4
	v_fmac_f32_e32 v3, 0xcf800000, v4
	v_cvt_u32_f32_e32 v4, v4
	v_cvt_u32_f32_e32 v3, v3
	v_mul_lo_u32 v6, s0, v4
	v_mul_hi_u32 v7, s0, v3
	v_mul_lo_u32 v13, s26, v3
	v_add_nc_u32_e32 v6, v7, v6
	v_mul_lo_u32 v7, s0, v3
	v_add_nc_u32_e32 v6, v6, v13
	v_mul_hi_u32 v13, v3, v7
	v_mul_lo_u32 v14, v3, v6
	v_mul_hi_u32 v15, v3, v6
	v_mul_hi_u32 v16, v4, v7
	v_mul_lo_u32 v7, v4, v7
	v_mul_hi_u32 v17, v4, v6
	v_mul_lo_u32 v6, v4, v6
	v_add_co_u32 v13, vcc_lo, v13, v14
	v_add_co_ci_u32_e32 v14, vcc_lo, 0, v15, vcc_lo
	v_add_co_u32 v7, vcc_lo, v13, v7
	v_add_co_ci_u32_e32 v7, vcc_lo, v14, v16, vcc_lo
	v_add_co_ci_u32_e32 v13, vcc_lo, 0, v17, vcc_lo
	v_add_co_u32 v6, vcc_lo, v7, v6
	v_add_co_ci_u32_e32 v7, vcc_lo, 0, v13, vcc_lo
	v_add_co_u32 v3, vcc_lo, v3, v6
	v_add_co_ci_u32_e32 v4, vcc_lo, v4, v7, vcc_lo
	v_mul_hi_u32 v6, s0, v3
	v_mul_lo_u32 v13, s26, v3
	v_mul_lo_u32 v7, s0, v4
	v_add_nc_u32_e32 v6, v6, v7
	v_mul_lo_u32 v7, s0, v3
	v_add_nc_u32_e32 v6, v6, v13
	v_mul_hi_u32 v13, v3, v7
	v_mul_lo_u32 v14, v3, v6
	v_mul_hi_u32 v15, v3, v6
	v_mul_hi_u32 v16, v4, v7
	v_mul_lo_u32 v7, v4, v7
	v_mul_hi_u32 v17, v4, v6
	v_mul_lo_u32 v6, v4, v6
	v_add_co_u32 v13, vcc_lo, v13, v14
	v_add_co_ci_u32_e32 v14, vcc_lo, 0, v15, vcc_lo
	v_add_co_u32 v7, vcc_lo, v13, v7
	v_add_co_ci_u32_e32 v7, vcc_lo, v14, v16, vcc_lo
	v_add_co_ci_u32_e32 v13, vcc_lo, 0, v17, vcc_lo
	v_add_co_u32 v6, vcc_lo, v7, v6
	v_add_co_ci_u32_e32 v7, vcc_lo, 0, v13, vcc_lo
	v_add_co_u32 v6, vcc_lo, v3, v6
	v_add_co_ci_u32_e32 v13, vcc_lo, v4, v7, vcc_lo
	v_mul_hi_u32 v15, v10, v6
	v_mad_u64_u32 v[6:7], null, v11, v6, 0
	v_mad_u64_u32 v[3:4], null, v10, v13, 0
	v_mad_u64_u32 v[13:14], null, v11, v13, 0
	v_add_co_u32 v3, vcc_lo, v15, v3
	v_add_co_ci_u32_e32 v4, vcc_lo, 0, v4, vcc_lo
	v_add_co_u32 v3, vcc_lo, v3, v6
	v_add_co_ci_u32_e32 v3, vcc_lo, v4, v7, vcc_lo
	v_add_co_ci_u32_e32 v4, vcc_lo, 0, v14, vcc_lo
	v_add_co_u32 v6, vcc_lo, v3, v13
	v_add_co_ci_u32_e32 v7, vcc_lo, 0, v4, vcc_lo
	v_mul_lo_u32 v13, s25, v6
	v_mad_u64_u32 v[3:4], null, s24, v6, 0
	v_mul_lo_u32 v14, s24, v7
	v_sub_co_u32 v3, vcc_lo, v10, v3
	v_add3_u32 v4, v4, v14, v13
	v_sub_nc_u32_e32 v13, v11, v4
	v_subrev_co_ci_u32_e64 v13, s0, s25, v13, vcc_lo
	v_add_co_u32 v14, s0, v6, 2
	v_add_co_ci_u32_e64 v15, s0, 0, v7, s0
	v_sub_co_u32 v16, s0, v3, s24
	v_sub_co_ci_u32_e32 v4, vcc_lo, v11, v4, vcc_lo
	v_subrev_co_ci_u32_e64 v13, s0, 0, v13, s0
	v_cmp_le_u32_e32 vcc_lo, s24, v16
	v_cmp_eq_u32_e64 s0, s25, v4
	v_cndmask_b32_e64 v16, 0, -1, vcc_lo
	v_cmp_le_u32_e32 vcc_lo, s25, v13
	v_cndmask_b32_e64 v17, 0, -1, vcc_lo
	v_cmp_le_u32_e32 vcc_lo, s24, v3
	;; [unrolled: 2-line block ×3, first 2 shown]
	v_cndmask_b32_e64 v18, 0, -1, vcc_lo
	v_cmp_eq_u32_e32 vcc_lo, s25, v13
	v_cndmask_b32_e64 v3, v18, v3, s0
	v_cndmask_b32_e32 v13, v17, v16, vcc_lo
	v_add_co_u32 v16, vcc_lo, v6, 1
	v_add_co_ci_u32_e32 v17, vcc_lo, 0, v7, vcc_lo
	v_cmp_ne_u32_e32 vcc_lo, 0, v13
	v_cndmask_b32_e32 v4, v17, v15, vcc_lo
	v_cndmask_b32_e32 v13, v16, v14, vcc_lo
	v_cmp_ne_u32_e32 vcc_lo, 0, v3
	v_cndmask_b32_e32 v4, v7, v4, vcc_lo
	v_cndmask_b32_e32 v3, v6, v13, vcc_lo
.LBB0_4:                                ;   in Loop: Header=BB0_2 Depth=1
	s_andn2_saveexec_b32 s0, s1
	s_cbranch_execz .LBB0_6
; %bb.5:                                ;   in Loop: Header=BB0_2 Depth=1
	v_cvt_f32_u32_e32 v3, s24
	s_sub_i32 s1, 0, s24
	v_rcp_iflag_f32_e32 v3, v3
	v_mul_f32_e32 v3, 0x4f7ffffe, v3
	v_cvt_u32_f32_e32 v3, v3
	v_mul_lo_u32 v4, s1, v3
	v_mul_hi_u32 v4, v3, v4
	v_add_nc_u32_e32 v3, v3, v4
	v_mul_hi_u32 v3, v10, v3
	v_mul_lo_u32 v4, v3, s24
	v_add_nc_u32_e32 v6, 1, v3
	v_sub_nc_u32_e32 v4, v10, v4
	v_subrev_nc_u32_e32 v7, s24, v4
	v_cmp_le_u32_e32 vcc_lo, s24, v4
	v_cndmask_b32_e32 v4, v4, v7, vcc_lo
	v_cndmask_b32_e32 v3, v3, v6, vcc_lo
	v_cmp_le_u32_e32 vcc_lo, s24, v4
	v_add_nc_u32_e32 v6, 1, v3
	v_mov_b32_e32 v4, v5
	v_cndmask_b32_e32 v3, v3, v6, vcc_lo
.LBB0_6:                                ;   in Loop: Header=BB0_2 Depth=1
	s_or_b32 exec_lo, exec_lo, s0
	v_mul_lo_u32 v13, v4, s24
	v_mul_lo_u32 v14, v3, s25
	s_load_dwordx2 s[0:1], s[6:7], 0x0
	v_mad_u64_u32 v[6:7], null, v3, s24, 0
	s_load_dwordx2 s[24:25], s[2:3], 0x0
	s_add_u32 s22, s22, 1
	s_addc_u32 s23, s23, 0
	s_add_u32 s2, s2, 8
	s_addc_u32 s3, s3, 0
	s_add_u32 s6, s6, 8
	v_add3_u32 v7, v7, v14, v13
	v_sub_co_u32 v6, vcc_lo, v10, v6
	s_addc_u32 s7, s7, 0
	s_add_u32 s20, s20, 8
	v_sub_co_ci_u32_e32 v7, vcc_lo, v11, v7, vcc_lo
	s_addc_u32 s21, s21, 0
	s_waitcnt lgkmcnt(0)
	v_mul_lo_u32 v10, s0, v7
	v_mul_lo_u32 v11, s1, v6
	v_mad_u64_u32 v[8:9], null, s0, v6, v[8:9]
	v_mul_lo_u32 v7, s24, v7
	v_mul_lo_u32 v13, s25, v6
	v_mad_u64_u32 v[1:2], null, s24, v6, v[1:2]
	v_cmp_ge_u64_e64 s0, s[22:23], s[14:15]
	v_add3_u32 v9, v11, v9, v10
	v_add3_u32 v2, v13, v2, v7
	s_and_b32 vcc_lo, exec_lo, s0
	s_cbranch_vccnz .LBB0_9
; %bb.7:                                ;   in Loop: Header=BB0_2 Depth=1
	v_mov_b32_e32 v11, v4
	v_mov_b32_e32 v10, v3
	s_branch .LBB0_2
.LBB0_8:
	v_mov_b32_e32 v1, v8
	v_mov_b32_e32 v3, v10
	;; [unrolled: 1-line block ×4, first 2 shown]
.LBB0_9:
	s_load_dwordx2 s[0:1], s[4:5], 0x28
	s_lshl_b64 s[4:5], s[14:15], 3
	v_mul_hi_u32 v5, 0x253c826, v0
	s_add_u32 s2, s18, s4
	s_addc_u32 s3, s19, s5
	v_mov_b32_e32 v14, 0
	s_load_dwordx2 s[2:3], s[2:3], 0x0
                                        ; implicit-def: $vgpr18
                                        ; implicit-def: $vgpr17
                                        ; implicit-def: $vgpr13
                                        ; implicit-def: $vgpr19
                                        ; implicit-def: $vgpr16
                                        ; implicit-def: $vgpr15
                                        ; implicit-def: $vgpr11
                                        ; implicit-def: $vgpr7
                                        ; implicit-def: $vgpr10
	v_mul_u32_u24_e32 v5, 0x6e, v5
	v_sub_nc_u32_e32 v6, v0, v5
	v_mov_b32_e32 v5, 0
                                        ; implicit-def: $vgpr0
	s_waitcnt lgkmcnt(0)
	v_cmp_gt_u64_e32 vcc_lo, s[0:1], v[3:4]
	s_and_saveexec_b32 s1, vcc_lo
	s_cbranch_execz .LBB0_13
; %bb.10:
	v_mov_b32_e32 v14, 0
	s_mov_b32 s6, exec_lo
                                        ; implicit-def: $vgpr10
                                        ; implicit-def: $vgpr7
                                        ; implicit-def: $vgpr11
                                        ; implicit-def: $vgpr15
                                        ; implicit-def: $vgpr16
                                        ; implicit-def: $vgpr19
                                        ; implicit-def: $vgpr13
                                        ; implicit-def: $vgpr17
                                        ; implicit-def: $vgpr18
                                        ; implicit-def: $vgpr0
	v_cmpx_gt_u32_e32 0x46, v6
	s_cbranch_execz .LBB0_12
; %bb.11:
	s_add_u32 s4, s16, s4
	s_addc_u32 s5, s17, s5
	v_mov_b32_e32 v7, 0
	s_load_dwordx2 s[4:5], s[4:5], 0x0
	v_lshlrev_b64 v[8:9], 2, v[8:9]
	s_waitcnt lgkmcnt(0)
	v_mul_lo_u32 v0, s5, v3
	v_mul_lo_u32 v5, s4, v4
	v_mad_u64_u32 v[10:11], null, s4, v3, 0
	v_add3_u32 v11, v11, v5, v0
	v_lshlrev_b64 v[10:11], 2, v[10:11]
	v_add_co_u32 v0, s0, s8, v10
	v_add_co_ci_u32_e64 v5, s0, s9, v11, s0
	v_lshlrev_b64 v[10:11], 2, v[6:7]
	v_add_co_u32 v0, s0, v0, v8
	v_add_co_ci_u32_e64 v5, s0, v5, v9, s0
	v_add_co_u32 v8, s0, v0, v10
	v_add_co_ci_u32_e64 v9, s0, v5, v11, s0
	;; [unrolled: 2-line block ×3, first 2 shown]
	s_clause 0xa
	global_load_dword v14, v[8:9], off
	global_load_dword v19, v[8:9], off offset:280
	global_load_dword v16, v[8:9], off offset:560
	;; [unrolled: 1-line block ×10, first 2 shown]
.LBB0_12:
	s_or_b32 exec_lo, exec_lo, s6
	v_mov_b32_e32 v5, v6
.LBB0_13:
	s_or_b32 exec_lo, exec_lo, s1
	s_waitcnt vmcnt(9)
	v_pk_add_f16 v8, v14, v19
	v_and_b32_e32 v9, 1, v12
	s_waitcnt vmcnt(0)
	v_pk_add_f16 v12, v19, v0
	v_pk_add_f16 v22, v19, v0 neg_lo:[0,1] neg_hi:[0,1]
	v_pk_add_f16 v20, v16, v18
	v_pk_add_f16 v8, v8, v16
	v_cmp_eq_u32_e64 s0, 1, v9
	v_lshrrev_b32_e32 v27, 16, v12
	v_lshrrev_b32_e32 v26, 16, v22
	v_mul_f16_e32 v25, 0xb853, v22
	v_pk_add_f16 v8, v8, v15
	v_pk_mul_f16 v9, 0xbb47, v22 op_sel_hi:[0,1]
	v_mul_f16_e32 v19, 0xbbeb, v22
	v_mul_f16_e32 v21, 0xba0c, v22
	v_fma_f16 v28, v27, 0x3abb, -v25
	v_pk_add_f16 v8, v8, v11
	v_pk_fma_f16 v40, 0x36a6, v12, v9 op_sel:[0,0,1] op_sel_hi:[0,1,0]
	v_pk_fma_f16 v9, 0x36a6, v12, v9 op_sel:[0,0,1] op_sel_hi:[0,1,0] neg_lo:[0,0,1] neg_hi:[0,0,1]
	v_mul_f16_e32 v29, 0xbbeb, v26
	v_fma_f16 v30, v27, 0xb08e, -v19
	v_pk_add_f16 v8, v8, v7
	v_mul_f16_e32 v31, 0xba0c, v26
	v_pk_add_f16 v23, v16, v18 neg_lo:[0,1] neg_hi:[0,1]
	v_mul_f16_e32 v16, 0x3abb, v12
	v_fma_f16 v32, v27, 0xb93d, -v21
	v_pk_add_f16 v8, v8, v10
	v_add_f16_sdwa v33, v14, v28 dst_sel:DWORD dst_unused:UNUSED_PAD src0_sel:WORD_1 src1_sel:DWORD
	v_bfi_b32 v28, 0xffff, v9, v40
	v_fmamk_f16 v34, v12, 0xb08e, v29
	v_add_f16_sdwa v35, v14, v30 dst_sel:DWORD dst_unused:UNUSED_PAD src0_sel:WORD_1 src1_sel:DWORD
	v_pk_add_f16 v8, v13, v8
	v_fma_f16 v29, v12, 0xb08e, -v29
	v_fmamk_f16 v30, v12, 0xb93d, v31
	v_fma_f16 v31, v12, 0xb93d, -v31
	v_fmamk_f16 v24, v26, 0xb853, v16
	v_pk_add_f16 v8, v17, v8
	v_add_f16_e32 v36, v14, v29
	v_add_f16_e32 v37, v14, v30
	v_pk_mul_f16 v38, 0xba0c, v23 op_sel_hi:[0,1]
	v_lshrrev_b32_e32 v30, 16, v23
	v_pk_add_f16 v8, v18, v8
	v_pk_add_f16 v18, v14, v28
	v_mul_f16_e32 v28, 0x36a6, v20
	v_mul_f16_e32 v29, 0xbb47, v23
	v_fmac_f16_e32 v19, 0xb08e, v27
	v_pk_add_f16 v0, v0, v8
	v_add_f16_sdwa v8, v14, v32 dst_sel:DWORD dst_unused:UNUSED_PAD src0_sel:WORD_1 src1_sel:DWORD
	v_add_f16_e32 v32, v14, v31
	v_lshrrev_b32_e32 v31, 16, v20
	v_add_f16_e32 v24, v14, v24
	v_pk_fma_f16 v42, 0xb93d, v20, v38 op_sel:[0,0,1] op_sel_hi:[0,1,0]
	v_pk_fma_f16 v43, 0xb93d, v20, v38 op_sel:[0,0,1] op_sel_hi:[0,1,0] neg_lo:[0,0,1] neg_hi:[0,0,1]
	v_mul_f16_e32 v38, 0x3482, v30
	v_fmamk_f16 v39, v30, 0xbb47, v28
	v_fma_f16 v41, v31, 0x36a6, -v29
	v_mul_f16_e32 v47, 0x3482, v23
	v_add_f16_sdwa v19, v14, v19 dst_sel:DWORD dst_unused:UNUSED_PAD src0_sel:WORD_1 src1_sel:DWORD
	v_add_f16_e32 v34, v14, v34
	v_bfi_b32 v45, 0xffff, v43, v42
	v_fmamk_f16 v46, v20, 0xbbad, v38
	v_add_f16_e32 v24, v24, v39
	v_add_f16_e32 v39, v33, v41
	v_fma_f16 v33, v31, 0xbbad, -v47
	v_fmac_f16_e32 v47, 0xbbad, v31
	v_pk_add_f16 v18, v18, v45
	v_add_f16_e32 v41, v34, v46
	v_mul_f16_e32 v34, 0x3beb, v30
	v_fma_f16 v38, v20, 0xbbad, -v38
	v_mul_f16_e32 v45, 0x3beb, v23
	v_add_f16_e32 v19, v19, v47
	v_pk_add_f16 v47, v15, v17 neg_lo:[0,1] neg_hi:[0,1]
	v_fmac_f16_e32 v21, 0xb93d, v27
	v_add_f16_e32 v46, v35, v33
	v_fmamk_f16 v33, v20, 0xb08e, v34
	v_add_f16_e32 v36, v36, v38
	v_fma_f16 v35, v31, 0xb08e, -v45
	v_fma_f16 v34, v20, 0xb08e, -v34
	v_pk_add_f16 v15, v15, v17
	v_pk_mul_f16 v38, 0x3482, v47 op_sel_hi:[0,1]
	v_add_f16_sdwa v21, v14, v21 dst_sel:DWORD dst_unused:UNUSED_PAD src0_sel:WORD_1 src1_sel:DWORD
	v_add_f16_e32 v37, v37, v33
	v_add_f16_e32 v8, v8, v35
	;; [unrolled: 1-line block ×3, first 2 shown]
	v_fmac_f16_e32 v45, 0xb08e, v31
	v_mul_f16_e32 v32, 0xb08e, v15
	v_lshrrev_b32_e32 v35, 16, v47
	v_lshrrev_b32_e32 v34, 16, v15
	v_mul_f16_e32 v33, 0xbbeb, v47
	v_pk_fma_f16 v48, 0xbbad, v15, v38 op_sel:[0,0,1] op_sel_hi:[0,1,0]
	v_pk_fma_f16 v49, 0xbbad, v15, v38 op_sel:[0,0,1] op_sel_hi:[0,1,0] neg_lo:[0,0,1] neg_hi:[0,0,1]
	v_mul_f16_e32 v38, 0x3b47, v35
	v_add_f16_e32 v21, v21, v45
	v_fmamk_f16 v45, v35, 0xbbeb, v32
	v_fma_f16 v50, v34, 0xb08e, -v33
	v_bfi_b32 v51, 0xffff, v49, v48
	v_mul_f16_e32 v53, 0x3b47, v47
	v_fmamk_f16 v52, v15, 0x36a6, v38
	v_add_f16_e32 v24, v24, v45
	v_add_f16_e32 v45, v39, v50
	v_pk_add_f16 v18, v18, v51
	v_fma_f16 v39, v34, 0x36a6, -v53
	v_mul_f16_e32 v50, 0xb853, v35
	v_fma_f16 v38, v15, 0x36a6, -v38
	v_fmac_f16_e32 v53, 0x36a6, v34
	v_mul_f16_e32 v51, 0xb853, v47
	v_add_f16_e32 v41, v41, v52
	v_add_f16_e32 v46, v46, v39
	v_fmamk_f16 v39, v15, 0x3abb, v50
	v_add_f16_e32 v52, v36, v38
	v_add_f16_e32 v19, v19, v53
	v_fma_f16 v36, v34, 0x3abb, -v51
	v_fma_f16 v38, v15, 0x3abb, -v50
	v_pk_add_f16 v53, v11, v13 neg_lo:[0,1] neg_hi:[0,1]
	v_pk_add_f16 v11, v11, v13
	v_add_f16_e32 v50, v37, v39
	v_add_f16_e32 v8, v8, v36
	;; [unrolled: 1-line block ×3, first 2 shown]
	v_fmac_f16_e32 v51, 0x3abb, v34
	v_pk_mul_f16 v17, 0x3beb, v53 op_sel_hi:[0,1]
	v_mul_f16_e32 v36, 0xb93d, v11
	v_lshrrev_b32_e32 v39, 16, v53
	v_lshrrev_b32_e32 v38, 16, v11
	v_mul_f16_e32 v37, 0xba0c, v53
	v_pk_fma_f16 v54, 0xb08e, v11, v17 op_sel:[0,0,1] op_sel_hi:[0,1,0]
	v_pk_fma_f16 v17, 0xb08e, v11, v17 op_sel:[0,0,1] op_sel_hi:[0,1,0] neg_lo:[0,0,1] neg_hi:[0,0,1]
	v_fmamk_f16 v55, v39, 0xba0c, v36
	v_add_f16_e32 v21, v21, v51
	v_fma_f16 v51, v38, 0xb93d, -v37
	v_mul_f16_e32 v56, 0xb853, v39
	v_bfi_b32 v57, 0xffff, v17, v54
	v_add_f16_e32 v24, v24, v55
	v_mul_f16_e32 v55, 0xb853, v53
	v_add_f16_e32 v45, v45, v51
	v_fmamk_f16 v51, v11, 0x3abb, v56
	v_fma_f16 v56, v11, 0x3abb, -v56
	v_pk_add_f16 v18, v18, v57
	v_mul_f16_e32 v57, 0xb482, v39
	v_fma_f16 v58, v38, 0x3abb, -v55
	v_fmac_f16_e32 v55, 0x3abb, v38
	v_add_f16_e32 v52, v52, v56
	v_mul_f16_e32 v56, 0xb482, v53
	v_bfi_b32 v9, 0xffff, v40, v9
	v_add_f16_e32 v51, v41, v51
	v_fmamk_f16 v41, v11, 0xbbad, v57
	v_add_f16_e32 v46, v46, v58
	v_add_f16_e32 v55, v19, v55
	v_pk_add_f16 v58, v7, v10
	v_pk_add_f16 v59, v7, v10 neg_lo:[0,1] neg_hi:[0,1]
	v_fma_f16 v7, v38, 0xbbad, -v56
	v_fma_f16 v10, v11, 0xbbad, -v57
	v_pk_add_f16 v9, v14, v9
	v_bfi_b32 v19, 0xffff, v42, v43
	v_add_f16_e32 v50, v50, v41
	v_lshrrev_b32_e32 v41, 16, v59
	v_fmac_f16_e32 v56, 0xbbad, v38
	v_add_f16_e32 v57, v8, v7
	v_add_f16_e32 v13, v13, v10
	v_pk_add_f16 v8, v9, v19
	v_bfi_b32 v9, 0xffff, v48, v49
	v_pk_mul_f16 v10, 0x3853, v59 op_sel_hi:[0,1]
	v_mul_f16_e32 v40, 0xbbad, v58
	v_add_f16_e32 v56, v21, v56
	v_mul_f16_e32 v21, 0xba0c, v41
	v_pk_add_f16 v8, v8, v9
	v_bfi_b32 v9, 0xffff, v54, v17
	v_pk_fma_f16 v17, 0x3abb, v58, v10 op_sel:[0,0,1] op_sel_hi:[0,1,0]
	v_pk_fma_f16 v10, 0x3abb, v58, v10 op_sel:[0,0,1] op_sel_hi:[0,1,0] neg_lo:[0,0,1] neg_hi:[0,0,1]
	v_fmamk_f16 v7, v41, 0xb482, v40
	v_lshrrev_b32_e32 v43, 16, v58
	v_mul_f16_e32 v42, 0xb482, v59
	v_pk_add_f16 v8, v8, v9
	v_bfi_b32 v9, 0xffff, v17, v10
	v_fmamk_f16 v48, v58, 0xb93d, v21
	v_add_f16_e32 v7, v24, v7
	v_fma_f16 v19, v43, 0xbbad, -v42
	v_mul_f16_e32 v24, 0xba0c, v59
	v_pk_add_f16 v8, v8, v9
	v_add_f16_e32 v9, v51, v48
	v_pk_mul_f16 v48, 0xbbad, v12 op_sel_hi:[0,1]
	v_bfi_b32 v10, 0xffff, v10, v17
	v_add_f16_e32 v17, v45, v19
	v_fma_f16 v19, v43, 0xb93d, -v24
	v_fmac_f16_e32 v24, 0xb93d, v43
	v_pk_fma_f16 v49, 0xb482, v22, v48 op_sel:[0,0,1] op_sel_hi:[0,1,0] neg_lo:[0,1,0] neg_hi:[0,1,0]
	v_pk_mul_f16 v51, 0x3abb, v20 op_sel_hi:[0,1]
	v_pk_fma_f16 v22, 0xb482, v22, v48 op_sel:[0,0,1] op_sel_hi:[0,1,0]
	v_pk_mul_f16 v15, 0xb93d, v15 op_sel_hi:[0,1]
	v_add_f16_e32 v20, v55, v24
	v_pk_add_f16 v24, v14, v49 op_sel:[1,0] op_sel_hi:[0,1]
	v_pk_fma_f16 v49, 0x3853, v23, v51 op_sel:[0,0,1] op_sel_hi:[0,1,0] neg_lo:[0,1,0] neg_hi:[0,1,0]
	v_pk_fma_f16 v23, 0x3853, v23, v51 op_sel:[0,0,1] op_sel_hi:[0,1,0]
	v_pk_fma_f16 v48, 0xba0c, v47, v15 op_sel:[0,0,1] op_sel_hi:[0,1,0] neg_lo:[0,1,0] neg_hi:[0,1,0]
	v_pk_mul_f16 v11, 0x36a6, v11 op_sel_hi:[0,1]
	v_pk_fma_f16 v15, 0xba0c, v47, v15 op_sel:[0,0,1] op_sel_hi:[0,1,0]
	v_pk_add_f16 v24, v24, v49
	v_add_f16_sdwa v49, v14, v22 dst_sel:DWORD dst_unused:UNUSED_PAD src0_sel:DWORD src1_sel:WORD_1
	v_add_f16_sdwa v22, v14, v22 dst_sel:DWORD dst_unused:UNUSED_PAD src0_sel:WORD_1 src1_sel:DWORD
	v_pk_add_f16 v18, v18, v10
	v_fma_f16 v10, v58, 0xb93d, -v21
	v_add_f16_e32 v19, v46, v19
	v_add_f16_sdwa v47, v49, v23 dst_sel:DWORD dst_unused:UNUSED_PAD src0_sel:DWORD src1_sel:WORD_1
	v_add_f16_e32 v22, v22, v23
	v_mul_f16_e32 v45, 0x3b47, v41
	v_mul_f16_e32 v46, 0x3b47, v59
	v_pk_add_f16 v24, v24, v48
	v_pk_fma_f16 v48, 0x3b47, v53, v11 op_sel:[0,0,1] op_sel_hi:[0,1,0]
	v_pk_fma_f16 v11, 0x3b47, v53, v11 op_sel:[0,0,1] op_sel_hi:[0,1,0] neg_lo:[0,1,0] neg_hi:[0,1,0]
	v_pk_mul_f16 v23, 0xb08e, v58 op_sel_hi:[0,1]
	v_add_f16_sdwa v47, v47, v15 dst_sel:DWORD dst_unused:UNUSED_PAD src0_sel:DWORD src1_sel:WORD_1
	v_add_f16_e32 v15, v22, v15
	v_cndmask_b32_e64 v44, 0, 0x302, s0
	v_add_f16_e32 v12, v52, v10
	v_fmamk_f16 v10, v58, 0x36a6, v45
	v_fma_f16 v21, v43, 0x36a6, -v46
	v_fma_f16 v45, v58, 0x36a6, -v45
	v_fmac_f16_e32 v46, 0x36a6, v43
	v_pk_add_f16 v22, v24, v11
	v_pk_fma_f16 v24, 0xbbeb, v59, v23 op_sel:[0,0,1] op_sel_hi:[0,1,0]
	v_add_f16_sdwa v47, v47, v48 dst_sel:DWORD dst_unused:UNUSED_PAD src0_sel:DWORD src1_sel:WORD_1
	v_pk_fma_f16 v49, 0xbbeb, v59, v23 op_sel:[0,0,1] op_sel_hi:[0,1,0] neg_lo:[0,1,0] neg_hi:[0,1,0]
	v_add_f16_e32 v15, v15, v48
	v_add_f16_e32 v10, v50, v10
	;; [unrolled: 1-line block ×5, first 2 shown]
	v_add_f16_sdwa v13, v47, v24 dst_sel:DWORD dst_unused:UNUSED_PAD src0_sel:DWORD src1_sel:WORD_1
	v_pk_add_f16 v22, v22, v49
	v_add_f16_e32 v24, v15, v24
	v_lshlrev_b32_e32 v15, 2, v44
	s_mov_b32 s1, exec_lo
	v_cmpx_gt_u32_e32 0x46, v6
	s_cbranch_execz .LBB0_15
; %bb.14:
	v_mul_f16_e32 v27, 0x3abb, v27
	v_mul_f16_e32 v26, 0xb853, v26
	;; [unrolled: 1-line block ×5, first 2 shown]
	v_add_f16_e32 v25, v27, v25
	v_sub_f16_e32 v16, v16, v26
	v_mul_f16_e32 v27, 0xb08e, v34
	v_add_f16_e32 v29, v31, v29
	v_sub_f16_e32 v28, v28, v30
	v_add_f16_sdwa v25, v14, v25 dst_sel:DWORD dst_unused:UNUSED_PAD src0_sel:WORD_1 src1_sel:DWORD
	v_add_f16_e32 v14, v14, v16
	v_mul_f16_e32 v26, 0xba0c, v39
	v_mul_f16_e32 v16, 0xb93d, v38
	v_add_f16_e32 v27, v27, v33
	v_add_f16_e32 v25, v25, v29
	v_sub_f16_e32 v29, v32, v35
	v_add_f16_e32 v14, v14, v28
	v_mul_f16_e32 v28, 0xbbad, v43
	v_add_f16_e32 v16, v16, v37
	v_add_f16_e32 v25, v25, v27
	v_sub_f16_e32 v26, v36, v26
	v_add_f16_e32 v14, v14, v29
	v_mul_f16_e32 v27, 0xb482, v41
	v_mul_u32_u24_e32 v29, 44, v6
	v_add_f16_e32 v16, v25, v16
	v_add_f16_e32 v25, v28, v42
	;; [unrolled: 1-line block ×3, first 2 shown]
	v_sub_f16_e32 v26, v40, v27
	v_add3_u32 v27, 0, v29, v15
	v_perm_b32 v28, v19, v9, 0x5040100
	v_add_f16_e32 v16, v16, v25
	v_perm_b32 v25, v17, v7, 0x5040100
	v_add_f16_e32 v14, v14, v26
	v_perm_b32 v26, v21, v10, 0x5040100
	v_perm_b32 v29, v22, v13, 0x5040100
	v_alignbit_b32 v30, v24, v22, 16
	v_perm_b32 v31, v20, v12, 0x5040100
	v_perm_b32 v32, v23, v11, 0x5040100
	v_pack_b32_f16 v14, v14, v16
	ds_write_b32 v27, v0
	ds_write2_b32 v27, v25, v8 offset0:1 offset1:2
	ds_write2_b32 v27, v28, v26 offset0:3 offset1:4
	;; [unrolled: 1-line block ×5, first 2 shown]
.LBB0_15:
	s_or_b32 exec_lo, exec_lo, s1
	v_cmp_gt_u32_e64 s0, 0x4d, v6
	v_lshrrev_b32_e32 v25, 16, v8
	v_lshrrev_b32_e32 v14, 16, v22
	v_lshlrev_b32_e32 v16, 2, v6
	s_waitcnt lgkmcnt(0)
	s_barrier
	buffer_gl0_inv
	s_and_saveexec_b32 s1, s0
	s_cbranch_execz .LBB0_17
; %bb.16:
	v_add3_u32 v17, 0, v16, v15
	v_add_nc_u32_e32 v0, 0x800, v17
	v_add_nc_u32_e32 v9, 0x200, v17
	;; [unrolled: 1-line block ×3, first 2 shown]
	ds_read2_b32 v[7:8], v17 offset0:77 offset1:154
	ds_read2_b32 v[11:12], v0 offset0:27 offset1:104
	;; [unrolled: 1-line block ×4, first 2 shown]
	v_add3_u32 v0, 0, v15, v16
	ds_read_b32 v0, v0
	ds_read_b32 v18, v17 offset:2772
	s_waitcnt lgkmcnt(5)
	v_lshrrev_b32_e32 v17, 16, v7
	v_lshrrev_b32_e32 v25, 16, v8
	s_waitcnt lgkmcnt(4)
	v_lshrrev_b32_e32 v20, 16, v12
	s_waitcnt lgkmcnt(3)
	v_lshrrev_b32_e32 v19, 16, v9
	v_lshrrev_b32_e32 v21, 16, v10
	s_waitcnt lgkmcnt(2)
	v_lshrrev_b32_e32 v22, 16, v13
	v_lshrrev_b32_e32 v24, 16, v14
	;; [unrolled: 1-line block ×3, first 2 shown]
.LBB0_17:
	s_or_b32 exec_lo, exec_lo, s1
	s_waitcnt lgkmcnt(0)
	s_barrier
	buffer_gl0_inv
	s_and_saveexec_b32 s1, s0
	s_cbranch_execz .LBB0_19
; %bb.18:
	v_and_b32_e32 v26, 0xff, v6
	v_mov_b32_e32 v37, 2
	v_lshrrev_b32_e32 v38, 16, v18
	v_mul_lo_u16 v26, 0x75, v26
	v_lshrrev_b16 v26, 8, v26
	v_sub_nc_u16 v27, v6, v26
	v_lshrrev_b16 v27, 1, v27
	v_and_b32_e32 v27, 0x7f, v27
	v_add_nc_u16 v26, v27, v26
	v_mov_b32_e32 v27, 9
	v_lshrrev_b16 v34, 3, v26
	v_mul_lo_u16 v26, v34, 11
	v_and_b32_e32 v34, 0xffff, v34
	v_sub_nc_u16 v35, v6, v26
	v_mad_u32_u24 v34, 0x1b8, v34, 0
	v_mul_u32_u24_sdwa v26, v35, v27 dst_sel:DWORD dst_unused:UNUSED_PAD src0_sel:BYTE_0 src1_sel:DWORD
	v_lshlrev_b32_sdwa v35, v37, v35 dst_sel:DWORD dst_unused:UNUSED_PAD src0_sel:DWORD src1_sel:BYTE_0
	v_lshrrev_b32_e32 v37, 16, v0
	v_lshlrev_b32_e32 v36, 2, v26
	v_add3_u32 v34, v34, v35, v15
	s_clause 0x2
	global_load_dwordx4 v[26:29], v36, s[12:13]
	global_load_dwordx4 v[30:33], v36, s[12:13] offset:16
	global_load_dword v36, v36, s[12:13] offset:32
	s_waitcnt vmcnt(2)
	v_mul_f16_sdwa v35, v8, v27 dst_sel:DWORD dst_unused:UNUSED_PAD src0_sel:DWORD src1_sel:WORD_1
	v_mul_f16_sdwa v39, v10, v29 dst_sel:DWORD dst_unused:UNUSED_PAD src0_sel:DWORD src1_sel:WORD_1
	s_waitcnt vmcnt(1)
	v_mul_f16_sdwa v40, v12, v33 dst_sel:DWORD dst_unused:UNUSED_PAD src0_sel:DWORD src1_sel:WORD_1
	v_mul_f16_sdwa v41, v14, v31 dst_sel:DWORD dst_unused:UNUSED_PAD src0_sel:DWORD src1_sel:WORD_1
	;; [unrolled: 1-line block ×5, first 2 shown]
	s_waitcnt vmcnt(0)
	v_mul_f16_sdwa v48, v38, v36 dst_sel:DWORD dst_unused:UNUSED_PAD src0_sel:DWORD src1_sel:WORD_1
	v_mul_f16_sdwa v49, v23, v32 dst_sel:DWORD dst_unused:UNUSED_PAD src0_sel:DWORD src1_sel:WORD_1
	;; [unrolled: 1-line block ×11, first 2 shown]
	v_fma_f16 v25, v25, v27, -v35
	v_fma_f16 v21, v21, v29, -v39
	;; [unrolled: 1-line block ×4, first 2 shown]
	v_fmac_f16_e32 v44, v10, v29
	v_fmac_f16_e32 v46, v9, v28
	;; [unrolled: 1-line block ×5, first 2 shown]
	v_fma_f16 v9, v22, v30, -v53
	v_fma_f16 v10, v23, v32, -v54
	v_fmac_f16_e32 v42, v8, v27
	v_fmac_f16_e32 v50, v7, v26
	v_fma_f16 v7, v19, v28, -v51
	v_fma_f16 v8, v38, v36, -v52
	v_fmac_f16_e32 v43, v12, v33
	v_fmac_f16_e32 v45, v14, v31
	v_fma_f16 v11, v17, v26, -v55
	v_sub_f16_e32 v12, v25, v21
	v_sub_f16_e32 v13, v20, v24
	v_add_f16_e32 v14, v21, v24
	v_sub_f16_e32 v19, v46, v47
	v_sub_f16_e32 v22, v48, v49
	v_add_f16_e32 v23, v47, v49
	v_add_f16_e32 v30, v9, v10
	;; [unrolled: 1-line block ×3, first 2 shown]
	v_sub_f16_e32 v17, v42, v43
	v_sub_f16_e32 v31, v46, v48
	;; [unrolled: 1-line block ×6, first 2 shown]
	v_add_f16_e32 v60, v42, v43
	v_add_f16_e32 v42, v0, v42
	;; [unrolled: 1-line block ×3, first 2 shown]
	v_fma_f16 v13, -0.5, v14, v37
	v_add_f16_e32 v14, v19, v22
	v_fma_f16 v19, -0.5, v23, v50
	v_fma_f16 v23, -0.5, v30, v11
	v_sub_f16_e32 v26, v7, v8
	v_sub_f16_e32 v28, v7, v9
	;; [unrolled: 1-line block ×6, first 2 shown]
	v_add_f16_e32 v36, v25, v20
	v_add_f16_e32 v40, v46, v48
	v_sub_f16_e32 v41, v9, v7
	v_add_f16_e32 v53, v37, v25
	v_add_f16_e32 v7, v11, v7
	;; [unrolled: 1-line block ×4, first 2 shown]
	v_fma_f16 v11, -0.5, v52, v11
	v_sub_f16_e32 v51, v10, v8
	v_add_f16_e32 v30, v38, v39
	v_add_f16_e32 v38, v42, v44
	v_fmamk_f16 v42, v31, 0xbb9c, v23
	v_fmac_f16_e32 v23, 0x3b9c, v31
	v_sub_f16_e32 v18, v44, v45
	v_sub_f16_e32 v27, v9, v10
	;; [unrolled: 1-line block ×4, first 2 shown]
	v_add_f16_e32 v22, v28, v29
	v_add_f16_e32 v28, v33, v35
	v_fma_f16 v29, -0.5, v36, v37
	v_fma_f16 v33, -0.5, v40, v50
	v_add_f16_e32 v21, v53, v21
	v_add_f16_e32 v7, v7, v9
	v_fma_f16 v36, -0.5, v56, v0
	v_add_f16_e32 v39, v46, v47
	v_fmamk_f16 v47, v32, 0x3b9c, v11
	v_fmac_f16_e32 v11, 0xbb9c, v32
	v_add_f16_e32 v35, v41, v51
	v_fmamk_f16 v41, v26, 0x3b9c, v19
	v_fmac_f16_e32 v19, 0xbb9c, v26
	v_fmac_f16_e32 v23, 0x38b4, v32
	v_sub_f16_e32 v55, v43, v45
	v_fma_f16 v0, -0.5, v60, v0
	v_fmamk_f16 v40, v17, 0xbb9c, v13
	v_fmamk_f16 v44, v18, 0x3b9c, v29
	;; [unrolled: 1-line block ×3, first 2 shown]
	v_fmac_f16_e32 v29, 0xbb9c, v18
	v_fmac_f16_e32 v33, 0x3b9c, v27
	;; [unrolled: 1-line block ×3, first 2 shown]
	v_add_f16_e32 v21, v21, v24
	v_add_f16_e32 v7, v7, v10
	v_fmamk_f16 v10, v25, 0x3b9c, v36
	v_fmac_f16_e32 v36, 0xbb9c, v25
	v_add_f16_e32 v38, v38, v45
	v_add_f16_e32 v39, v39, v49
	v_fmac_f16_e32 v47, 0xb8b4, v31
	v_fmac_f16_e32 v11, 0x38b4, v31
	;; [unrolled: 1-line block ×5, first 2 shown]
	v_sub_f16_e32 v59, v45, v43
	v_add_f16_e32 v9, v54, v55
	v_fmamk_f16 v24, v57, 0xbb9c, v0
	v_fmac_f16_e32 v0, 0x3b9c, v57
	v_fmac_f16_e32 v40, 0xb8b4, v18
	v_fmac_f16_e32 v44, 0xb8b4, v17
	v_fmac_f16_e32 v46, 0x38b4, v26
	v_fmac_f16_e32 v29, 0x38b4, v17
	v_fmac_f16_e32 v33, 0xb8b4, v26
	v_fmac_f16_e32 v13, 0x38b4, v18
	v_add_f16_e32 v17, v21, v20
	v_add_f16_e32 v7, v7, v8
	v_fmac_f16_e32 v10, 0x38b4, v57
	v_fmac_f16_e32 v36, 0xb8b4, v57
	v_add_f16_e32 v8, v38, v43
	v_add_f16_e32 v18, v39, v48
	v_fmac_f16_e32 v47, 0x34f2, v35
	v_fmac_f16_e32 v11, 0x34f2, v35
	;; [unrolled: 1-line block ×5, first 2 shown]
	v_mul_f16_e32 v20, 0x3a79, v23
	v_mul_f16_e32 v23, 0xb8b4, v23
	v_add_f16_e32 v37, v58, v59
	v_fmac_f16_e32 v24, 0x38b4, v25
	v_fmac_f16_e32 v0, 0xb8b4, v25
	;; [unrolled: 1-line block ×6, first 2 shown]
	v_sub_f16_e32 v12, v17, v7
	v_fmac_f16_e32 v10, 0x34f2, v9
	v_fmac_f16_e32 v36, 0x34f2, v9
	v_sub_f16_e32 v9, v8, v18
	v_add_f16_e32 v7, v17, v7
	v_add_f16_e32 v8, v8, v18
	v_mul_f16_e32 v17, 0xb4f2, v47
	v_mul_f16_e32 v18, 0x34f2, v11
	;; [unrolled: 1-line block ×4, first 2 shown]
	v_fmac_f16_e32 v41, 0x34f2, v14
	v_mul_f16_e32 v14, 0xba79, v42
	v_mul_f16_e32 v21, 0xb8b4, v42
	v_fmac_f16_e32 v20, 0x38b4, v19
	v_fmac_f16_e32 v23, 0x3a79, v19
	;; [unrolled: 1-line block ×12, first 2 shown]
	v_sub_f16_e32 v25, v13, v20
	v_add_f16_e32 v13, v13, v20
	v_add_f16_e32 v20, v36, v23
	v_pack_b32_f16 v7, v8, v7
	v_pack_b32_f16 v8, v9, v12
	v_sub_f16_e32 v12, v44, v17
	v_sub_f16_e32 v19, v29, v18
	v_sub_f16_e32 v28, v0, v11
	v_add_f16_e32 v17, v44, v17
	v_add_f16_e32 v18, v29, v18
	;; [unrolled: 1-line block ×4, first 2 shown]
	v_sub_f16_e32 v9, v40, v14
	v_sub_f16_e32 v26, v10, v21
	v_add_f16_e32 v14, v40, v14
	v_add_f16_e32 v10, v10, v21
	v_sub_f16_e32 v21, v36, v23
	v_sub_f16_e32 v27, v24, v22
	v_pack_b32_f16 v13, v20, v13
	v_pack_b32_f16 v0, v0, v18
	;; [unrolled: 1-line block ×8, first 2 shown]
	ds_write2_b32 v34, v7, v13 offset1:11
	ds_write2_b32 v34, v0, v11 offset0:22 offset1:33
	ds_write2_b32 v34, v10, v8 offset0:44 offset1:55
	;; [unrolled: 1-line block ×4, first 2 shown]
.LBB0_19:
	s_or_b32 exec_lo, exec_lo, s1
	s_waitcnt lgkmcnt(0)
	s_barrier
	buffer_gl0_inv
	s_and_saveexec_b32 s0, vcc_lo
	s_cbranch_execz .LBB0_21
; %bb.20:
	v_mul_u32_u24_e32 v0, 6, v6
	v_mul_lo_u32 v6, s2, v4
	v_add3_u32 v17, 0, v16, v15
	v_add3_u32 v19, 0, v15, v16
	v_lshlrev_b32_e32 v0, 2, v0
	s_clause 0x1
	global_load_dwordx4 v[7:10], v0, s[12:13] offset:396
	global_load_dwordx2 v[11:12], v0, s[12:13] offset:412
	v_mul_lo_u32 v0, s3, v3
	v_mad_u64_u32 v[3:4], null, s2, v3, 0
	v_add_nc_u32_e32 v18, 0x800, v17
	ds_read2_b32 v[13:14], v17 offset0:110 offset1:220
	ds_read_b32 v19, v19
	ds_read2_b32 v[15:16], v18 offset0:38 offset1:148
	v_add3_u32 v4, v4, v6, v0
	v_add_nc_u32_e32 v0, 0x400, v17
	v_mov_b32_e32 v6, 0
	v_lshlrev_b64 v[3:4], 2, v[3:4]
	ds_read2_b32 v[17:18], v0 offset0:74 offset1:184
	v_lshlrev_b64 v[0:1], 2, v[1:2]
	v_add_co_u32 v20, vcc_lo, s10, v3
	v_add_co_ci_u32_e32 v4, vcc_lo, s11, v4, vcc_lo
	v_lshlrev_b64 v[2:3], 2, v[5:6]
	v_add_co_u32 v0, vcc_lo, v20, v0
	v_add_co_ci_u32_e32 v1, vcc_lo, v4, v1, vcc_lo
	s_waitcnt lgkmcnt(3)
	v_lshrrev_b32_e32 v4, 16, v13
	v_lshrrev_b32_e32 v5, 16, v14
	s_waitcnt lgkmcnt(1)
	v_lshrrev_b32_e32 v6, 16, v16
	v_lshrrev_b32_e32 v22, 16, v15
	v_add_co_u32 v0, vcc_lo, v0, v2
	s_waitcnt lgkmcnt(0)
	v_lshrrev_b32_e32 v20, 16, v18
	v_lshrrev_b32_e32 v21, 16, v17
	v_add_co_ci_u32_e32 v1, vcc_lo, v1, v3, vcc_lo
	v_add_co_u32 v2, vcc_lo, 0x800, v0
	v_add_co_ci_u32_e32 v3, vcc_lo, 0, v1, vcc_lo
	s_waitcnt vmcnt(1)
	v_mul_f16_sdwa v23, v7, v4 dst_sel:DWORD dst_unused:UNUSED_PAD src0_sel:WORD_1 src1_sel:DWORD
	s_waitcnt vmcnt(0)
	v_mul_f16_sdwa v24, v12, v6 dst_sel:DWORD dst_unused:UNUSED_PAD src0_sel:WORD_1 src1_sel:DWORD
	v_mul_f16_sdwa v25, v10, v20 dst_sel:DWORD dst_unused:UNUSED_PAD src0_sel:WORD_1 src1_sel:DWORD
	v_mul_f16_sdwa v26, v9, v21 dst_sel:DWORD dst_unused:UNUSED_PAD src0_sel:WORD_1 src1_sel:DWORD
	v_mul_f16_sdwa v27, v8, v5 dst_sel:DWORD dst_unused:UNUSED_PAD src0_sel:WORD_1 src1_sel:DWORD
	v_mul_f16_sdwa v28, v11, v22 dst_sel:DWORD dst_unused:UNUSED_PAD src0_sel:WORD_1 src1_sel:DWORD
	v_mul_f16_sdwa v29, v12, v16 dst_sel:DWORD dst_unused:UNUSED_PAD src0_sel:WORD_1 src1_sel:DWORD
	v_mul_f16_sdwa v30, v7, v13 dst_sel:DWORD dst_unused:UNUSED_PAD src0_sel:WORD_1 src1_sel:DWORD
	v_mul_f16_sdwa v31, v9, v17 dst_sel:DWORD dst_unused:UNUSED_PAD src0_sel:WORD_1 src1_sel:DWORD
	v_mul_f16_sdwa v32, v10, v18 dst_sel:DWORD dst_unused:UNUSED_PAD src0_sel:WORD_1 src1_sel:DWORD
	v_mul_f16_sdwa v33, v11, v15 dst_sel:DWORD dst_unused:UNUSED_PAD src0_sel:WORD_1 src1_sel:DWORD
	v_mul_f16_sdwa v34, v8, v14 dst_sel:DWORD dst_unused:UNUSED_PAD src0_sel:WORD_1 src1_sel:DWORD
	v_fmac_f16_e32 v23, v7, v13
	v_fmac_f16_e32 v24, v12, v16
	v_fmac_f16_e32 v25, v10, v18
	v_fmac_f16_e32 v26, v9, v17
	v_fmac_f16_e32 v27, v8, v14
	v_fmac_f16_e32 v28, v11, v15
	v_fma_f16 v6, v12, v6, -v29
	v_fma_f16 v4, v7, v4, -v30
	;; [unrolled: 1-line block ×6, first 2 shown]
	v_add_f16_e32 v13, v4, v6
	v_add_f16_e32 v16, v23, v24
	;; [unrolled: 1-line block ×3, first 2 shown]
	v_sub_f16_e32 v8, v23, v24
	v_add_f16_e32 v15, v5, v10
	v_sub_f16_e32 v11, v25, v26
	v_sub_f16_e32 v12, v27, v28
	v_add_f16_e32 v14, v9, v7
	v_add_f16_e32 v17, v25, v26
	v_sub_f16_e32 v4, v4, v6
	v_sub_f16_e32 v6, v9, v7
	;; [unrolled: 1-line block ×3, first 2 shown]
	v_add_f16_e32 v21, v13, v15
	v_add_f16_e32 v24, v16, v18
	v_sub_f16_e32 v7, v8, v11
	v_sub_f16_e32 v9, v11, v12
	v_add_f16_e32 v10, v11, v12
	v_sub_f16_e32 v11, v13, v14
	v_sub_f16_e32 v20, v14, v15
	;; [unrolled: 1-line block ×6, first 2 shown]
	v_add_f16_e32 v6, v6, v5
	v_sub_f16_e32 v12, v12, v8
	v_sub_f16_e32 v5, v5, v4
	v_add_f16_e32 v14, v14, v21
	v_add_f16_e32 v17, v17, v24
	v_sub_f16_e32 v13, v15, v13
	v_sub_f16_e32 v15, v18, v16
	v_mul_f16_e32 v9, 0x3846, v9
	v_add_f16_e32 v8, v8, v10
	v_mul_f16_e32 v10, 0x3a52, v11
	v_mul_f16_e32 v16, 0x2b26, v20
	;; [unrolled: 1-line block ×5, first 2 shown]
	v_add_f16_e32 v4, v4, v6
	v_mul_f16_e32 v6, 0xbb00, v12
	v_mul_f16_e32 v23, 0xbb00, v5
	v_add_f16_sdwa v26, v14, v19 dst_sel:DWORD dst_unused:UNUSED_PAD src0_sel:DWORD src1_sel:WORD_1
	v_add_f16_e32 v19, v17, v19
	v_fmamk_f16 v24, v7, 0xb574, v9
	v_fmamk_f16 v11, v11, 0x3a52, v16
	;; [unrolled: 1-line block ×4, first 2 shown]
	v_fma_f16 v6, v7, 0x3574, -v6
	v_fma_f16 v7, v13, 0xb9e0, -v10
	;; [unrolled: 1-line block ×7, first 2 shown]
	v_fmamk_f16 v14, v14, 0xbcab, v26
	v_fmamk_f16 v15, v17, 0xbcab, v19
	v_fma_f16 v13, v13, 0x39e0, -v16
	v_fmac_f16_e32 v24, 0xb70e, v8
	v_fmac_f16_e32 v27, 0xb70e, v4
	;; [unrolled: 1-line block ×6, first 2 shown]
	v_pack_b32_f16 v4, v19, v26
	v_add_f16_e32 v8, v11, v14
	v_add_f16_e32 v11, v22, v15
	;; [unrolled: 1-line block ×6, first 2 shown]
	global_store_dword v[0:1], v4, off
	v_add_f16_e32 v4, v24, v8
	v_add_f16_e32 v15, v6, v7
	v_sub_f16_e32 v6, v7, v6
	v_sub_f16_e32 v7, v8, v24
	v_add_f16_e32 v8, v27, v11
	v_sub_f16_e32 v14, v11, v27
	v_add_f16_e32 v11, v18, v10
	;; [unrolled: 2-line block ×4, first 2 shown]
	v_sub_f16_e32 v10, v10, v18
	v_pack_b32_f16 v7, v8, v7
	v_pack_b32_f16 v6, v11, v6
	;; [unrolled: 1-line block ×6, first 2 shown]
	global_store_dword v[0:1], v7, off offset:440
	global_store_dword v[0:1], v6, off offset:880
	;; [unrolled: 1-line block ×6, first 2 shown]
.LBB0_21:
	s_endpgm
	.section	.rodata,"a",@progbits
	.p2align	6, 0x0
	.amdhsa_kernel fft_rtc_back_len770_factors_11_10_7_wgs_220_tpt_110_half_op_CI_CI_unitstride_sbrr_dirReg
		.amdhsa_group_segment_fixed_size 0
		.amdhsa_private_segment_fixed_size 0
		.amdhsa_kernarg_size 104
		.amdhsa_user_sgpr_count 6
		.amdhsa_user_sgpr_private_segment_buffer 1
		.amdhsa_user_sgpr_dispatch_ptr 0
		.amdhsa_user_sgpr_queue_ptr 0
		.amdhsa_user_sgpr_kernarg_segment_ptr 1
		.amdhsa_user_sgpr_dispatch_id 0
		.amdhsa_user_sgpr_flat_scratch_init 0
		.amdhsa_user_sgpr_private_segment_size 0
		.amdhsa_wavefront_size32 1
		.amdhsa_uses_dynamic_stack 0
		.amdhsa_system_sgpr_private_segment_wavefront_offset 0
		.amdhsa_system_sgpr_workgroup_id_x 1
		.amdhsa_system_sgpr_workgroup_id_y 0
		.amdhsa_system_sgpr_workgroup_id_z 0
		.amdhsa_system_sgpr_workgroup_info 0
		.amdhsa_system_vgpr_workitem_id 0
		.amdhsa_next_free_vgpr 61
		.amdhsa_next_free_sgpr 27
		.amdhsa_reserve_vcc 1
		.amdhsa_reserve_flat_scratch 0
		.amdhsa_float_round_mode_32 0
		.amdhsa_float_round_mode_16_64 0
		.amdhsa_float_denorm_mode_32 3
		.amdhsa_float_denorm_mode_16_64 3
		.amdhsa_dx10_clamp 1
		.amdhsa_ieee_mode 1
		.amdhsa_fp16_overflow 0
		.amdhsa_workgroup_processor_mode 1
		.amdhsa_memory_ordered 1
		.amdhsa_forward_progress 0
		.amdhsa_shared_vgpr_count 0
		.amdhsa_exception_fp_ieee_invalid_op 0
		.amdhsa_exception_fp_denorm_src 0
		.amdhsa_exception_fp_ieee_div_zero 0
		.amdhsa_exception_fp_ieee_overflow 0
		.amdhsa_exception_fp_ieee_underflow 0
		.amdhsa_exception_fp_ieee_inexact 0
		.amdhsa_exception_int_div_zero 0
	.end_amdhsa_kernel
	.text
.Lfunc_end0:
	.size	fft_rtc_back_len770_factors_11_10_7_wgs_220_tpt_110_half_op_CI_CI_unitstride_sbrr_dirReg, .Lfunc_end0-fft_rtc_back_len770_factors_11_10_7_wgs_220_tpt_110_half_op_CI_CI_unitstride_sbrr_dirReg
                                        ; -- End function
	.section	.AMDGPU.csdata,"",@progbits
; Kernel info:
; codeLenInByte = 6336
; NumSgprs: 29
; NumVgprs: 61
; ScratchSize: 0
; MemoryBound: 0
; FloatMode: 240
; IeeeMode: 1
; LDSByteSize: 0 bytes/workgroup (compile time only)
; SGPRBlocks: 3
; VGPRBlocks: 7
; NumSGPRsForWavesPerEU: 29
; NumVGPRsForWavesPerEU: 61
; Occupancy: 16
; WaveLimiterHint : 1
; COMPUTE_PGM_RSRC2:SCRATCH_EN: 0
; COMPUTE_PGM_RSRC2:USER_SGPR: 6
; COMPUTE_PGM_RSRC2:TRAP_HANDLER: 0
; COMPUTE_PGM_RSRC2:TGID_X_EN: 1
; COMPUTE_PGM_RSRC2:TGID_Y_EN: 0
; COMPUTE_PGM_RSRC2:TGID_Z_EN: 0
; COMPUTE_PGM_RSRC2:TIDIG_COMP_CNT: 0
	.text
	.p2alignl 6, 3214868480
	.fill 48, 4, 3214868480
	.type	__hip_cuid_918b1ca61b8a1de4,@object ; @__hip_cuid_918b1ca61b8a1de4
	.section	.bss,"aw",@nobits
	.globl	__hip_cuid_918b1ca61b8a1de4
__hip_cuid_918b1ca61b8a1de4:
	.byte	0                               ; 0x0
	.size	__hip_cuid_918b1ca61b8a1de4, 1

	.ident	"AMD clang version 19.0.0git (https://github.com/RadeonOpenCompute/llvm-project roc-6.4.0 25133 c7fe45cf4b819c5991fe208aaa96edf142730f1d)"
	.section	".note.GNU-stack","",@progbits
	.addrsig
	.addrsig_sym __hip_cuid_918b1ca61b8a1de4
	.amdgpu_metadata
---
amdhsa.kernels:
  - .args:
      - .actual_access:  read_only
        .address_space:  global
        .offset:         0
        .size:           8
        .value_kind:     global_buffer
      - .offset:         8
        .size:           8
        .value_kind:     by_value
      - .actual_access:  read_only
        .address_space:  global
        .offset:         16
        .size:           8
        .value_kind:     global_buffer
      - .actual_access:  read_only
        .address_space:  global
        .offset:         24
        .size:           8
        .value_kind:     global_buffer
      - .actual_access:  read_only
        .address_space:  global
        .offset:         32
        .size:           8
        .value_kind:     global_buffer
      - .offset:         40
        .size:           8
        .value_kind:     by_value
      - .actual_access:  read_only
        .address_space:  global
        .offset:         48
        .size:           8
        .value_kind:     global_buffer
      - .actual_access:  read_only
        .address_space:  global
        .offset:         56
        .size:           8
        .value_kind:     global_buffer
      - .offset:         64
        .size:           4
        .value_kind:     by_value
      - .actual_access:  read_only
        .address_space:  global
        .offset:         72
        .size:           8
        .value_kind:     global_buffer
      - .actual_access:  read_only
        .address_space:  global
        .offset:         80
        .size:           8
        .value_kind:     global_buffer
      - .actual_access:  read_only
        .address_space:  global
        .offset:         88
        .size:           8
        .value_kind:     global_buffer
      - .actual_access:  write_only
        .address_space:  global
        .offset:         96
        .size:           8
        .value_kind:     global_buffer
    .group_segment_fixed_size: 0
    .kernarg_segment_align: 8
    .kernarg_segment_size: 104
    .language:       OpenCL C
    .language_version:
      - 2
      - 0
    .max_flat_workgroup_size: 220
    .name:           fft_rtc_back_len770_factors_11_10_7_wgs_220_tpt_110_half_op_CI_CI_unitstride_sbrr_dirReg
    .private_segment_fixed_size: 0
    .sgpr_count:     29
    .sgpr_spill_count: 0
    .symbol:         fft_rtc_back_len770_factors_11_10_7_wgs_220_tpt_110_half_op_CI_CI_unitstride_sbrr_dirReg.kd
    .uniform_work_group_size: 1
    .uses_dynamic_stack: false
    .vgpr_count:     61
    .vgpr_spill_count: 0
    .wavefront_size: 32
    .workgroup_processor_mode: 1
amdhsa.target:   amdgcn-amd-amdhsa--gfx1030
amdhsa.version:
  - 1
  - 2
...

	.end_amdgpu_metadata
